;; amdgpu-corpus repo=ROCm/rocFFT kind=compiled arch=gfx906 opt=O3
	.text
	.amdgcn_target "amdgcn-amd-amdhsa--gfx906"
	.amdhsa_code_object_version 6
	.protected	fft_rtc_back_len1485_factors_3_5_11_3_3_wgs_165_tpt_165_half_ip_CI_sbrr_dirReg ; -- Begin function fft_rtc_back_len1485_factors_3_5_11_3_3_wgs_165_tpt_165_half_ip_CI_sbrr_dirReg
	.globl	fft_rtc_back_len1485_factors_3_5_11_3_3_wgs_165_tpt_165_half_ip_CI_sbrr_dirReg
	.p2align	8
	.type	fft_rtc_back_len1485_factors_3_5_11_3_3_wgs_165_tpt_165_half_ip_CI_sbrr_dirReg,@function
fft_rtc_back_len1485_factors_3_5_11_3_3_wgs_165_tpt_165_half_ip_CI_sbrr_dirReg: ; @fft_rtc_back_len1485_factors_3_5_11_3_3_wgs_165_tpt_165_half_ip_CI_sbrr_dirReg
; %bb.0:
	s_load_dwordx2 s[14:15], s[4:5], 0x18
	s_load_dwordx4 s[8:11], s[4:5], 0x0
	s_load_dwordx2 s[12:13], s[4:5], 0x50
	v_mul_u32_u24_e32 v1, 0x18e, v0
	v_add_u32_sdwa v5, s6, v1 dst_sel:DWORD dst_unused:UNUSED_PAD src0_sel:DWORD src1_sel:WORD_1
	s_waitcnt lgkmcnt(0)
	s_load_dwordx2 s[2:3], s[14:15], 0x0
	v_cmp_lt_u64_e64 s[0:1], s[10:11], 2
	v_mov_b32_e32 v3, 0
	v_mov_b32_e32 v1, 0
	;; [unrolled: 1-line block ×3, first 2 shown]
	s_and_b64 vcc, exec, s[0:1]
	v_mov_b32_e32 v2, 0
	s_cbranch_vccnz .LBB0_8
; %bb.1:
	s_load_dwordx2 s[0:1], s[4:5], 0x10
	s_add_u32 s6, s14, 8
	s_addc_u32 s7, s15, 0
	v_mov_b32_e32 v1, 0
	v_mov_b32_e32 v2, 0
	s_waitcnt lgkmcnt(0)
	s_add_u32 s16, s0, 8
	s_addc_u32 s17, s1, 0
	s_mov_b64 s[18:19], 1
.LBB0_2:                                ; =>This Inner Loop Header: Depth=1
	s_load_dwordx2 s[20:21], s[16:17], 0x0
                                        ; implicit-def: $vgpr7_vgpr8
	s_waitcnt lgkmcnt(0)
	v_or_b32_e32 v4, s21, v6
	v_cmp_ne_u64_e32 vcc, 0, v[3:4]
	s_and_saveexec_b64 s[0:1], vcc
	s_xor_b64 s[22:23], exec, s[0:1]
	s_cbranch_execz .LBB0_4
; %bb.3:                                ;   in Loop: Header=BB0_2 Depth=1
	v_cvt_f32_u32_e32 v4, s20
	v_cvt_f32_u32_e32 v7, s21
	s_sub_u32 s0, 0, s20
	s_subb_u32 s1, 0, s21
	v_mac_f32_e32 v4, 0x4f800000, v7
	v_rcp_f32_e32 v4, v4
	v_mul_f32_e32 v4, 0x5f7ffffc, v4
	v_mul_f32_e32 v7, 0x2f800000, v4
	v_trunc_f32_e32 v7, v7
	v_mac_f32_e32 v4, 0xcf800000, v7
	v_cvt_u32_f32_e32 v7, v7
	v_cvt_u32_f32_e32 v4, v4
	v_mul_lo_u32 v8, s0, v7
	v_mul_hi_u32 v9, s0, v4
	v_mul_lo_u32 v11, s1, v4
	v_mul_lo_u32 v10, s0, v4
	v_add_u32_e32 v8, v9, v8
	v_add_u32_e32 v8, v8, v11
	v_mul_hi_u32 v9, v4, v10
	v_mul_lo_u32 v11, v4, v8
	v_mul_hi_u32 v13, v4, v8
	v_mul_hi_u32 v12, v7, v10
	v_mul_lo_u32 v10, v7, v10
	v_mul_hi_u32 v14, v7, v8
	v_add_co_u32_e32 v9, vcc, v9, v11
	v_addc_co_u32_e32 v11, vcc, 0, v13, vcc
	v_mul_lo_u32 v8, v7, v8
	v_add_co_u32_e32 v9, vcc, v9, v10
	v_addc_co_u32_e32 v9, vcc, v11, v12, vcc
	v_addc_co_u32_e32 v10, vcc, 0, v14, vcc
	v_add_co_u32_e32 v8, vcc, v9, v8
	v_addc_co_u32_e32 v9, vcc, 0, v10, vcc
	v_add_co_u32_e32 v4, vcc, v4, v8
	v_addc_co_u32_e32 v7, vcc, v7, v9, vcc
	v_mul_lo_u32 v8, s0, v7
	v_mul_hi_u32 v9, s0, v4
	v_mul_lo_u32 v10, s1, v4
	v_mul_lo_u32 v11, s0, v4
	v_add_u32_e32 v8, v9, v8
	v_add_u32_e32 v8, v8, v10
	v_mul_lo_u32 v12, v4, v8
	v_mul_hi_u32 v13, v4, v11
	v_mul_hi_u32 v14, v4, v8
	;; [unrolled: 1-line block ×3, first 2 shown]
	v_mul_lo_u32 v11, v7, v11
	v_mul_hi_u32 v9, v7, v8
	v_add_co_u32_e32 v12, vcc, v13, v12
	v_addc_co_u32_e32 v13, vcc, 0, v14, vcc
	v_mul_lo_u32 v8, v7, v8
	v_add_co_u32_e32 v11, vcc, v12, v11
	v_addc_co_u32_e32 v10, vcc, v13, v10, vcc
	v_addc_co_u32_e32 v9, vcc, 0, v9, vcc
	v_add_co_u32_e32 v8, vcc, v10, v8
	v_addc_co_u32_e32 v9, vcc, 0, v9, vcc
	v_add_co_u32_e32 v4, vcc, v4, v8
	v_addc_co_u32_e32 v9, vcc, v7, v9, vcc
	v_mad_u64_u32 v[7:8], s[0:1], v5, v9, 0
	v_mul_hi_u32 v10, v5, v4
	v_add_co_u32_e32 v11, vcc, v10, v7
	v_addc_co_u32_e32 v12, vcc, 0, v8, vcc
	v_mad_u64_u32 v[7:8], s[0:1], v6, v4, 0
	v_mad_u64_u32 v[9:10], s[0:1], v6, v9, 0
	v_add_co_u32_e32 v4, vcc, v11, v7
	v_addc_co_u32_e32 v4, vcc, v12, v8, vcc
	v_addc_co_u32_e32 v7, vcc, 0, v10, vcc
	v_add_co_u32_e32 v4, vcc, v4, v9
	v_addc_co_u32_e32 v9, vcc, 0, v7, vcc
	v_mul_lo_u32 v10, s21, v4
	v_mul_lo_u32 v11, s20, v9
	v_mad_u64_u32 v[7:8], s[0:1], s20, v4, 0
	v_add3_u32 v8, v8, v11, v10
	v_sub_u32_e32 v10, v6, v8
	v_mov_b32_e32 v11, s21
	v_sub_co_u32_e32 v7, vcc, v5, v7
	v_subb_co_u32_e64 v10, s[0:1], v10, v11, vcc
	v_subrev_co_u32_e64 v11, s[0:1], s20, v7
	v_subbrev_co_u32_e64 v10, s[0:1], 0, v10, s[0:1]
	v_cmp_le_u32_e64 s[0:1], s21, v10
	v_cndmask_b32_e64 v12, 0, -1, s[0:1]
	v_cmp_le_u32_e64 s[0:1], s20, v11
	v_cndmask_b32_e64 v11, 0, -1, s[0:1]
	v_cmp_eq_u32_e64 s[0:1], s21, v10
	v_cndmask_b32_e64 v10, v12, v11, s[0:1]
	v_add_co_u32_e64 v11, s[0:1], 2, v4
	v_addc_co_u32_e64 v12, s[0:1], 0, v9, s[0:1]
	v_add_co_u32_e64 v13, s[0:1], 1, v4
	v_addc_co_u32_e64 v14, s[0:1], 0, v9, s[0:1]
	v_subb_co_u32_e32 v8, vcc, v6, v8, vcc
	v_cmp_ne_u32_e64 s[0:1], 0, v10
	v_cmp_le_u32_e32 vcc, s21, v8
	v_cndmask_b32_e64 v10, v14, v12, s[0:1]
	v_cndmask_b32_e64 v12, 0, -1, vcc
	v_cmp_le_u32_e32 vcc, s20, v7
	v_cndmask_b32_e64 v7, 0, -1, vcc
	v_cmp_eq_u32_e32 vcc, s21, v8
	v_cndmask_b32_e32 v7, v12, v7, vcc
	v_cmp_ne_u32_e32 vcc, 0, v7
	v_cndmask_b32_e64 v7, v13, v11, s[0:1]
	v_cndmask_b32_e32 v8, v9, v10, vcc
	v_cndmask_b32_e32 v7, v4, v7, vcc
.LBB0_4:                                ;   in Loop: Header=BB0_2 Depth=1
	s_andn2_saveexec_b64 s[0:1], s[22:23]
	s_cbranch_execz .LBB0_6
; %bb.5:                                ;   in Loop: Header=BB0_2 Depth=1
	v_cvt_f32_u32_e32 v4, s20
	s_sub_i32 s22, 0, s20
	v_rcp_iflag_f32_e32 v4, v4
	v_mul_f32_e32 v4, 0x4f7ffffe, v4
	v_cvt_u32_f32_e32 v4, v4
	v_mul_lo_u32 v7, s22, v4
	v_mul_hi_u32 v7, v4, v7
	v_add_u32_e32 v4, v4, v7
	v_mul_hi_u32 v4, v5, v4
	v_mul_lo_u32 v7, v4, s20
	v_add_u32_e32 v8, 1, v4
	v_sub_u32_e32 v7, v5, v7
	v_subrev_u32_e32 v9, s20, v7
	v_cmp_le_u32_e32 vcc, s20, v7
	v_cndmask_b32_e32 v7, v7, v9, vcc
	v_cndmask_b32_e32 v4, v4, v8, vcc
	v_add_u32_e32 v8, 1, v4
	v_cmp_le_u32_e32 vcc, s20, v7
	v_cndmask_b32_e32 v7, v4, v8, vcc
	v_mov_b32_e32 v8, v3
.LBB0_6:                                ;   in Loop: Header=BB0_2 Depth=1
	s_or_b64 exec, exec, s[0:1]
	v_mul_lo_u32 v4, v8, s20
	v_mul_lo_u32 v11, v7, s21
	v_mad_u64_u32 v[9:10], s[0:1], v7, s20, 0
	s_load_dwordx2 s[0:1], s[6:7], 0x0
	s_add_u32 s18, s18, 1
	v_add3_u32 v4, v10, v11, v4
	v_sub_co_u32_e32 v5, vcc, v5, v9
	v_subb_co_u32_e32 v4, vcc, v6, v4, vcc
	s_waitcnt lgkmcnt(0)
	v_mul_lo_u32 v4, s0, v4
	v_mul_lo_u32 v6, s1, v5
	v_mad_u64_u32 v[1:2], s[0:1], s0, v5, v[1:2]
	s_addc_u32 s19, s19, 0
	s_add_u32 s6, s6, 8
	v_add3_u32 v2, v6, v2, v4
	v_mov_b32_e32 v4, s10
	v_mov_b32_e32 v5, s11
	s_addc_u32 s7, s7, 0
	v_cmp_ge_u64_e32 vcc, s[18:19], v[4:5]
	s_add_u32 s16, s16, 8
	s_addc_u32 s17, s17, 0
	s_cbranch_vccnz .LBB0_9
; %bb.7:                                ;   in Loop: Header=BB0_2 Depth=1
	v_mov_b32_e32 v5, v7
	v_mov_b32_e32 v6, v8
	s_branch .LBB0_2
.LBB0_8:
	v_mov_b32_e32 v8, v6
	v_mov_b32_e32 v7, v5
.LBB0_9:
	s_lshl_b64 s[0:1], s[10:11], 3
	s_add_u32 s0, s14, s0
	s_addc_u32 s1, s15, s1
	s_load_dwordx2 s[6:7], s[0:1], 0x0
	s_load_dwordx2 s[10:11], s[4:5], 0x20
                                        ; implicit-def: $vgpr13
                                        ; implicit-def: $vgpr14
	s_waitcnt lgkmcnt(0)
	v_mad_u64_u32 v[1:2], s[0:1], s6, v7, v[1:2]
	s_mov_b32 s0, 0x18d3019
	v_mul_lo_u32 v3, s6, v8
	v_mul_lo_u32 v4, s7, v7
	v_mul_hi_u32 v5, v0, s0
	v_cmp_gt_u64_e32 vcc, s[10:11], v[7:8]
	v_cmp_le_u64_e64 s[0:1], s[10:11], v[7:8]
	v_add3_u32 v2, v4, v2, v3
	v_mul_u32_u24_e32 v3, 0xa5, v5
	v_sub_u32_e32 v12, v0, v3
	s_and_saveexec_b64 s[4:5], s[0:1]
	s_xor_b64 s[0:1], exec, s[4:5]
; %bb.10:
	v_add_u32_e32 v13, 0xa5, v12
	v_add_u32_e32 v14, 0x14a, v12
; %bb.11:
	s_or_saveexec_b64 s[4:5], s[0:1]
	v_lshlrev_b64 v[0:1], 2, v[1:2]
                                        ; implicit-def: $vgpr3
                                        ; implicit-def: $vgpr4
                                        ; implicit-def: $vgpr5
                                        ; implicit-def: $vgpr2
                                        ; implicit-def: $vgpr6
                                        ; implicit-def: $vgpr7
                                        ; implicit-def: $vgpr8
                                        ; implicit-def: $vgpr9
                                        ; implicit-def: $vgpr10
	s_xor_b64 exec, exec, s[4:5]
	s_cbranch_execz .LBB0_13
; %bb.12:
	v_mad_u64_u32 v[2:3], s[0:1], s2, v12, 0
	v_add_u32_e32 v7, 0x1ef, v12
	v_mov_b32_e32 v6, s13
	v_mad_u64_u32 v[3:4], s[0:1], s3, v12, v[3:4]
	v_mad_u64_u32 v[4:5], s[0:1], s2, v7, 0
	v_add_co_u32_e64 v10, s[0:1], s12, v0
	v_addc_co_u32_e64 v11, s[0:1], v6, v1, s[0:1]
	v_mad_u64_u32 v[5:6], s[0:1], s3, v7, v[5:6]
	v_add_u32_e32 v8, 0x3de, v12
	v_mad_u64_u32 v[6:7], s[0:1], s2, v8, 0
	v_lshlrev_b64 v[2:3], 2, v[2:3]
	v_add_u32_e32 v13, 0xa5, v12
	v_add_co_u32_e64 v15, s[0:1], v10, v2
	v_addc_co_u32_e64 v16, s[0:1], v11, v3, s[0:1]
	v_lshlrev_b64 v[2:3], 2, v[4:5]
	v_mov_b32_e32 v4, v7
	v_mad_u64_u32 v[4:5], s[0:1], s3, v8, v[4:5]
	v_mad_u64_u32 v[8:9], s[0:1], s2, v13, 0
	v_add_co_u32_e64 v17, s[0:1], v10, v2
	v_mov_b32_e32 v7, v4
	v_mov_b32_e32 v4, v9
	v_addc_co_u32_e64 v18, s[0:1], v11, v3, s[0:1]
	v_lshlrev_b64 v[2:3], 2, v[6:7]
	v_mad_u64_u32 v[4:5], s[0:1], s3, v13, v[4:5]
	v_add_u32_e32 v7, 0x294, v12
	v_mad_u64_u32 v[5:6], s[0:1], s2, v7, 0
	v_add_co_u32_e64 v19, s[0:1], v10, v2
	v_mov_b32_e32 v9, v4
	v_mov_b32_e32 v4, v6
	v_addc_co_u32_e64 v20, s[0:1], v11, v3, s[0:1]
	v_lshlrev_b64 v[2:3], 2, v[8:9]
	v_mad_u64_u32 v[6:7], s[0:1], s3, v7, v[4:5]
	v_add_u32_e32 v9, 0x483, v12
	v_mad_u64_u32 v[7:8], s[0:1], s2, v9, 0
	v_add_co_u32_e64 v21, s[0:1], v10, v2
	v_mov_b32_e32 v4, v8
	v_addc_co_u32_e64 v22, s[0:1], v11, v3, s[0:1]
	v_lshlrev_b64 v[2:3], 2, v[5:6]
	v_mad_u64_u32 v[4:5], s[0:1], s3, v9, v[4:5]
	v_add_u32_e32 v14, 0x14a, v12
	v_mad_u64_u32 v[5:6], s[0:1], s2, v14, 0
	v_add_co_u32_e64 v23, s[0:1], v10, v2
	v_mov_b32_e32 v8, v4
	v_mov_b32_e32 v4, v6
	v_addc_co_u32_e64 v24, s[0:1], v11, v3, s[0:1]
	v_lshlrev_b64 v[2:3], 2, v[7:8]
	v_mad_u64_u32 v[6:7], s[0:1], s3, v14, v[4:5]
	v_add_u32_e32 v9, 0x339, v12
	v_mad_u64_u32 v[7:8], s[0:1], s2, v9, 0
	v_add_co_u32_e64 v25, s[0:1], v10, v2
	v_mov_b32_e32 v4, v8
	v_addc_co_u32_e64 v26, s[0:1], v11, v3, s[0:1]
	v_lshlrev_b64 v[2:3], 2, v[5:6]
	v_mad_u64_u32 v[4:5], s[0:1], s3, v9, v[4:5]
	v_add_u32_e32 v9, 0x528, v12
	v_mad_u64_u32 v[5:6], s[0:1], s2, v9, 0
	v_add_co_u32_e64 v27, s[0:1], v10, v2
	v_mov_b32_e32 v8, v4
	v_mov_b32_e32 v4, v6
	v_addc_co_u32_e64 v28, s[0:1], v11, v3, s[0:1]
	v_lshlrev_b64 v[2:3], 2, v[7:8]
	v_mad_u64_u32 v[6:7], s[0:1], s3, v9, v[4:5]
	v_add_co_u32_e64 v29, s[0:1], v10, v2
	v_addc_co_u32_e64 v30, s[0:1], v11, v3, s[0:1]
	v_lshlrev_b64 v[2:3], 2, v[5:6]
	v_add_co_u32_e64 v31, s[0:1], v10, v2
	v_addc_co_u32_e64 v32, s[0:1], v11, v3, s[0:1]
	global_load_dword v8, v[15:16], off
	global_load_dword v9, v[17:18], off
	global_load_dword v10, v[19:20], off
	global_load_dword v2, v[21:22], off
	global_load_dword v6, v[23:24], off
	global_load_dword v7, v[25:26], off
	global_load_dword v5, v[27:28], off
	global_load_dword v4, v[29:30], off
	global_load_dword v3, v[31:32], off
.LBB0_13:
	s_or_b64 exec, exec, s[4:5]
	s_waitcnt vmcnt(7)
	v_pk_add_f16 v11, v8, v9
	s_waitcnt vmcnt(6)
	v_pk_add_f16 v17, v9, v10
	v_pk_add_f16 v9, v9, v10 neg_lo:[0,1] neg_hi:[0,1]
	s_movk_i32 s0, 0x3aee
	v_pk_fma_f16 v8, v17, 0.5, v8 op_sel_hi:[1,0,1] neg_lo:[1,0,0] neg_hi:[1,0,0]
	v_pk_mul_f16 v9, v9, s0 op_sel_hi:[1,0]
	v_pk_add_f16 v11, v11, v10
	v_pk_add_f16 v10, v8, v9 op_sel:[0,1] op_sel_hi:[1,0] neg_lo:[0,1] neg_hi:[0,1]
	v_pk_add_f16 v8, v8, v9 op_sel:[0,1] op_sel_hi:[1,0]
	s_mov_b32 s1, 0xffff
	v_mad_u32_u24 v18, v12, 12, 0
	v_bfi_b32 v9, s1, v10, v8
	s_waitcnt vmcnt(4)
	v_pk_add_f16 v15, v2, v6
	ds_write2_b32 v18, v11, v9 offset1:1
	s_waitcnt vmcnt(3)
	v_pk_add_f16 v9, v6, v7
	v_pk_add_f16 v6, v6, v7 neg_lo:[0,1] neg_hi:[0,1]
	v_pk_fma_f16 v2, v9, 0.5, v2 op_sel_hi:[1,0,1] neg_lo:[1,0,0] neg_hi:[1,0,0]
	v_pk_mul_f16 v6, v6, s0 op_sel_hi:[1,0]
	v_pk_add_f16 v11, v6, v2 op_sel:[1,0] op_sel_hi:[0,1]
	v_pk_add_f16 v2, v2, v6 op_sel:[0,1] op_sel_hi:[1,0] neg_lo:[0,1] neg_hi:[0,1]
	s_waitcnt vmcnt(1)
	v_pk_add_f16 v16, v4, v5
	v_bfi_b32 v8, s1, v8, v10
	v_mad_i32_i24 v21, v13, 12, 0
	v_bfi_b32 v6, s1, v2, v11
	v_lshrrev_b32_e32 v17, 16, v2
	v_bfi_b32 v2, s1, v11, v2
	ds_write_b32 v18, v8 offset:8
	v_pk_add_f16 v8, v15, v7
	ds_write_b32 v21, v2 offset:8
	s_waitcnt vmcnt(0)
	v_pk_add_f16 v2, v3, v16
	v_pk_add_f16 v7, v3, v4
	v_pk_add_f16 v3, v4, v3 neg_lo:[0,1] neg_hi:[0,1]
	v_pk_fma_f16 v5, v7, 0.5, v5 op_sel_hi:[1,0,1] neg_lo:[1,0,0] neg_hi:[1,0,0]
	v_pk_mul_f16 v4, v3, s0 op_sel_hi:[1,0]
	v_pk_add_f16 v3, v4, v5 op_sel:[1,0] op_sel_hi:[0,1]
	v_pk_add_f16 v4, v5, v4 op_sel:[0,1] op_sel_hi:[1,0] neg_lo:[0,1] neg_hi:[0,1]
	ds_write2_b32 v21, v8, v6 offset1:1
	v_mad_i32_i24 v6, v14, 12, 0
	v_bfi_b32 v5, s1, v4, v3
	ds_write2_b32 v6, v2, v5 offset1:1
	v_bfi_b32 v5, s1, v3, v4
	ds_write_b32 v6, v5 offset:8
	v_lshlrev_b32_e32 v5, 3, v12
	v_sub_u32_e32 v15, 0, v5
	v_sub_u32_e32 v5, v18, v5
	s_waitcnt lgkmcnt(0)
	s_barrier
	ds_read_b32 v10, v5
	ds_read_b32 v16, v5 offset:1188
	ds_read_b32 v7, v5 offset:2376
	;; [unrolled: 1-line block ×4, first 2 shown]
	s_movk_i32 s0, 0x84
	v_lshrrev_b32_e32 v8, 16, v4
	v_lshrrev_b32_e32 v9, 16, v2
	v_cmp_gt_u32_e64 s[0:1], s0, v12
	v_lshrrev_b32_e32 v20, 16, v3
	v_add_u32_e32 v15, v18, v15
                                        ; implicit-def: $vgpr19
                                        ; implicit-def: $vgpr18
	s_and_saveexec_b64 s[4:5], s[0:1]
	s_cbranch_execz .LBB0_15
; %bb.14:
	v_lshlrev_b32_e32 v2, 3, v13
	v_sub_u32_e32 v2, v21, v2
	ds_read_b32 v11, v2
	ds_read_b32 v18, v15 offset:5412
	ds_read_b32 v2, v15 offset:1848
	ds_read_b32 v4, v15 offset:3036
	ds_read_b32 v3, v15 offset:4224
	s_waitcnt lgkmcnt(4)
	v_lshrrev_b32_e32 v17, 16, v11
	s_waitcnt lgkmcnt(3)
	v_lshrrev_b32_e32 v19, 16, v18
	;; [unrolled: 2-line block ×5, first 2 shown]
.LBB0_15:
	s_or_b64 exec, exec, s[4:5]
	s_movk_i32 s4, 0xab
	v_mul_lo_u16_sdwa v21, v12, s4 dst_sel:DWORD dst_unused:UNUSED_PAD src0_sel:BYTE_0 src1_sel:DWORD
	v_lshrrev_b16_e32 v21, 9, v21
	v_mul_lo_u16_e32 v22, 3, v21
	v_sub_u16_e32 v22, v12, v22
	v_mov_b32_e32 v23, 4
	v_lshlrev_b32_sdwa v23, v23, v22 dst_sel:DWORD dst_unused:UNUSED_PAD src0_sel:DWORD src1_sel:BYTE_0
	s_mov_b32 s4, 0xaaab
	global_load_dwordx4 v[26:29], v23, s[8:9]
	v_mul_u32_u24_sdwa v23, v13, s4 dst_sel:DWORD dst_unused:UNUSED_PAD src0_sel:WORD_0 src1_sel:DWORD
	v_lshrrev_b32_e32 v24, 17, v23
	v_mul_lo_u16_e32 v23, 3, v24
	v_sub_u16_e32 v25, v13, v23
	v_lshlrev_b32_e32 v23, 4, v25
	global_load_dwordx4 v[30:33], v23, s[8:9]
	s_waitcnt lgkmcnt(3)
	v_lshrrev_b32_e32 v23, 16, v16
	s_waitcnt lgkmcnt(2)
	v_lshrrev_b32_e32 v34, 16, v7
	;; [unrolled: 2-line block ×4, first 2 shown]
	s_mov_b32 s6, 0xbb9c
	s_movk_i32 s7, 0x3b9c
	s_mov_b32 s5, 0xb8b4
	s_movk_i32 s10, 0x38b4
	s_movk_i32 s4, 0x34f2
	s_waitcnt vmcnt(0)
	s_barrier
	v_mul_f16_sdwa v37, v26, v23 dst_sel:DWORD dst_unused:UNUSED_PAD src0_sel:WORD_1 src1_sel:DWORD
	v_mul_f16_sdwa v38, v26, v16 dst_sel:DWORD dst_unused:UNUSED_PAD src0_sel:WORD_1 src1_sel:DWORD
	;; [unrolled: 1-line block ×8, first 2 shown]
	v_mul_f16_sdwa v45, v9, v30 dst_sel:DWORD dst_unused:UNUSED_PAD src0_sel:DWORD src1_sel:WORD_1
	v_mul_f16_sdwa v47, v20, v31 dst_sel:DWORD dst_unused:UNUSED_PAD src0_sel:DWORD src1_sel:WORD_1
	;; [unrolled: 1-line block ×4, first 2 shown]
	v_fma_f16 v16, v26, v16, v37
	v_fma_f16 v23, v26, v23, -v38
	v_fma_f16 v26, v27, v7, v39
	v_fma_f16 v27, v27, v34, -v40
	;; [unrolled: 2-line block ×3, first 2 shown]
	v_fma_f16 v35, v29, v5, v43
	v_mul_f16_sdwa v46, v2, v30 dst_sel:DWORD dst_unused:UNUSED_PAD src0_sel:DWORD src1_sel:WORD_1
	v_mul_f16_sdwa v48, v4, v31 dst_sel:DWORD dst_unused:UNUSED_PAD src0_sel:DWORD src1_sel:WORD_1
	;; [unrolled: 1-line block ×4, first 2 shown]
	v_fma_f16 v29, v29, v36, -v44
	v_fma_f16 v36, v2, v30, v45
	v_fma_f16 v37, v4, v31, v47
	;; [unrolled: 1-line block ×4, first 2 shown]
	v_sub_f16_e32 v2, v26, v16
	v_sub_f16_e32 v3, v34, v35
	v_add_f16_e32 v4, v16, v35
	v_fma_f16 v30, v9, v30, -v46
	v_fma_f16 v31, v20, v31, -v48
	;; [unrolled: 1-line block ×4, first 2 shown]
	v_sub_f16_e32 v40, v27, v28
	v_sub_f16_e32 v5, v36, v37
	;; [unrolled: 1-line block ×3, first 2 shown]
	v_add_f16_e32 v9, v37, v38
	v_add_f16_e32 v18, v36, v39
	;; [unrolled: 1-line block ×3, first 2 shown]
	v_fma_f16 v3, v4, -0.5, v10
	v_sub_f16_e32 v41, v23, v29
	v_sub_f16_e32 v7, v37, v36
	;; [unrolled: 1-line block ×5, first 2 shown]
	v_add_f16_e32 v42, v5, v6
	v_fma_f16 v4, v9, -0.5, v11
	v_fma_f16 v5, v18, -0.5, v11
	v_fma_f16 v6, v40, s7, v3
	v_fma_f16 v3, v40, s6, v3
	v_add_f16_e32 v8, v7, v8
	v_fma_f16 v7, v19, s6, v4
	v_fma_f16 v4, v19, s7, v4
	v_fma_f16 v9, v20, s7, v5
	v_fma_f16 v5, v20, s6, v5
	v_fma_f16 v6, v41, s5, v6
	v_fma_f16 v3, v41, s10, v3
	v_fma_f16 v7, v20, s5, v7
	v_fma_f16 v18, v20, s10, v4
	v_fma_f16 v9, v19, s5, v9
	v_fma_f16 v19, v19, s10, v5
	v_fma_f16 v4, v2, s4, v6
	v_fma_f16 v5, v2, s4, v3
	v_mov_b32_e32 v2, 2
	v_fma_f16 v6, v42, s4, v7
	v_fma_f16 v7, v8, s4, v9
	;; [unrolled: 1-line block ×3, first 2 shown]
	v_lshlrev_b32_sdwa v18, v2, v22 dst_sel:DWORD dst_unused:UNUSED_PAD src0_sel:DWORD src1_sel:BYTE_0
	v_sub_f16_e32 v2, v16, v26
	v_sub_f16_e32 v3, v35, v34
	v_add_f16_e32 v22, v2, v3
	v_add_f16_e32 v2, v10, v16
	;; [unrolled: 1-line block ×4, first 2 shown]
	v_fma_f16 v8, v8, s4, v19
	v_add_f16_e32 v2, v2, v35
	v_sub_f16_e32 v35, v16, v35
	v_sub_f16_e32 v16, v23, v27
	;; [unrolled: 1-line block ×3, first 2 shown]
	v_add_f16_e32 v3, v26, v34
	v_sub_f16_e32 v26, v26, v34
	v_add_f16_e32 v34, v16, v19
	v_mul_u32_u24_e32 v16, 60, v21
	v_fma_f16 v42, v3, -0.5, v10
	v_add3_u32 v43, 0, v16, v18
	v_lshrrev_b32_e32 v10, 16, v10
	v_add_f16_e32 v18, v27, v28
	v_add_f16_e32 v16, v10, v23
	v_fma_f16 v21, v18, -0.5, v10
	v_fma_f16 v3, v41, s6, v42
	v_add_f16_e32 v16, v16, v27
	v_fma_f16 v18, v35, s7, v21
	v_fma_f16 v3, v40, s5, v3
	v_add_f16_e32 v16, v16, v28
	v_fma_f16 v18, v26, s10, v18
	;; [unrolled: 3-line block ×3, first 2 shown]
	v_pack_b32_f16 v19, v2, v16
	v_pack_b32_f16 v20, v3, v18
	ds_write2_b32 v43, v19, v20 offset1:3
	v_add_f16_e32 v19, v23, v29
	v_fma_f16 v10, v19, -0.5, v10
	v_sub_f16_e32 v19, v27, v23
	v_sub_f16_e32 v20, v28, v29
	v_add_f16_e32 v20, v19, v20
	v_fma_f16 v19, v26, s6, v10
	v_fma_f16 v10, v26, s7, v10
	;; [unrolled: 1-line block ×6, first 2 shown]
	v_pack_b32_f16 v10, v4, v19
	v_pack_b32_f16 v23, v5, v20
	ds_write2_b32 v43, v10, v23 offset0:6 offset1:9
	v_fma_f16 v10, v41, s7, v42
	v_fma_f16 v21, v35, s6, v21
	;; [unrolled: 1-line block ×6, first 2 shown]
	v_pack_b32_f16 v22, v10, v21
	ds_write_b32 v43, v22 offset:48
	v_sub_f16_e32 v22, v30, v31
	v_sub_f16_e32 v23, v33, v32
	v_add_f16_e32 v22, v22, v23
	v_add_f16_e32 v23, v31, v32
	v_sub_f16_e32 v27, v36, v39
	v_fma_f16 v26, v23, -0.5, v17
	v_sub_f16_e32 v28, v37, v38
	v_fma_f16 v23, v27, s7, v26
	v_fma_f16 v26, v27, s6, v26
	;; [unrolled: 1-line block ×6, first 2 shown]
	v_add_f16_e32 v26, v30, v33
	v_fma_f16 v29, v26, -0.5, v17
	v_add_f16_e32 v17, v17, v30
	v_add_f16_e32 v17, v17, v31
	;; [unrolled: 1-line block ×4, first 2 shown]
	v_sub_f16_e32 v30, v31, v30
	v_add_f16_e32 v26, v17, v33
	v_sub_f16_e32 v17, v32, v33
	v_add_f16_e32 v11, v11, v37
	v_add_f16_e32 v17, v30, v17
	v_fma_f16 v30, v28, s6, v29
	v_fma_f16 v28, v28, s7, v29
	v_add_f16_e32 v11, v11, v38
	v_fma_f16 v29, v27, s10, v30
	v_fma_f16 v28, v27, s5, v28
	;; [unrolled: 3-line block ×3, first 2 shown]
	s_and_saveexec_b64 s[4:5], s[0:1]
	s_cbranch_execz .LBB0_17
; %bb.16:
	v_mul_lo_u16_e32 v24, 15, v24
	v_lshlrev_b32_e32 v25, 2, v25
	v_lshlrev_b32_e32 v24, 2, v24
	s_mov_b32 s0, 0x5040100
	v_add3_u32 v24, 0, v25, v24
	v_perm_b32 v25, v26, v11, s0
	v_perm_b32 v28, v23, v6, s0
	ds_write2_b32 v24, v25, v28 offset1:3
	v_perm_b32 v25, v27, v7, s0
	v_perm_b32 v28, v17, v8, s0
	ds_write2_b32 v24, v25, v28 offset0:6 offset1:9
	v_perm_b32 v25, v22, v9, s0
	ds_write_b32 v24, v25 offset:48
.LBB0_17:
	s_or_b64 exec, exec, s[4:5]
	s_movk_i32 s0, 0x87
	v_cmp_gt_u32_e64 s[0:1], s0, v12
	s_waitcnt lgkmcnt(0)
	s_barrier
	s_waitcnt lgkmcnt(0)
                                        ; implicit-def: $vgpr25
                                        ; implicit-def: $vgpr24
	s_and_saveexec_b64 s[4:5], s[0:1]
	s_cbranch_execz .LBB0_19
; %bb.18:
	v_add_u32_e32 v4, 0x400, v15
	v_add_u32_e32 v6, 0x800, v15
	;; [unrolled: 1-line block ×3, first 2 shown]
	ds_read2_b32 v[2:3], v15 offset1:135
	ds_read2_b32 v[4:5], v4 offset0:14 offset1:149
	ds_read2_b32 v[8:9], v7 offset0:56 offset1:191
	;; [unrolled: 1-line block ×3, first 2 shown]
	ds_read_b32 v24, v15 offset:5400
	v_add_u32_e32 v6, 0xc00, v15
	ds_read2_b32 v[6:7], v6 offset0:42 offset1:177
	s_waitcnt lgkmcnt(5)
	v_lshrrev_b32_e32 v16, 16, v2
	s_waitcnt lgkmcnt(3)
	v_lshrrev_b32_e32 v17, 16, v8
	v_lshrrev_b32_e32 v22, 16, v9
	s_waitcnt lgkmcnt(1)
	v_lshrrev_b32_e32 v25, 16, v24
	v_lshrrev_b32_e32 v18, 16, v3
	;; [unrolled: 1-line block ×6, first 2 shown]
	s_waitcnt lgkmcnt(0)
	v_lshrrev_b32_e32 v23, 16, v6
	v_lshrrev_b32_e32 v27, 16, v7
.LBB0_19:
	s_or_b64 exec, exec, s[4:5]
	s_barrier
	s_and_saveexec_b64 s[4:5], s[0:1]
	s_cbranch_execz .LBB0_21
; %bb.20:
	s_movk_i32 s0, 0x89
	v_mul_lo_u16_sdwa v28, v12, s0 dst_sel:DWORD dst_unused:UNUSED_PAD src0_sel:BYTE_0 src1_sel:DWORD
	v_lshrrev_b16_e32 v38, 11, v28
	v_mul_lo_u16_e32 v28, 15, v38
	v_sub_u16_e32 v39, v12, v28
	v_mov_b32_e32 v28, 10
	v_mul_u32_u24_sdwa v28, v39, v28 dst_sel:DWORD dst_unused:UNUSED_PAD src0_sel:BYTE_0 src1_sel:DWORD
	v_lshlrev_b32_e32 v40, 2, v28
	global_load_dwordx2 v[36:37], v40, s[8:9] offset:80
	global_load_dwordx4 v[28:31], v40, s[8:9] offset:48
	global_load_dwordx4 v[32:35], v40, s[8:9] offset:64
	s_movk_i32 s7, 0x3482
	s_mov_b32 s0, 0xbbad
	s_mov_b32 s6, 0xb853
	s_movk_i32 s1, 0x3abb
	s_movk_i32 s15, 0x3a0c
	s_mov_b32 s10, 0xbb47
	s_mov_b32 s11, 0xb93d
	s_movk_i32 s14, 0x3beb
	;; [unrolled: 4-line block ×3, first 2 shown]
	s_mov_b32 s20, 0xb482
	s_movk_i32 s21, 0x3b47
	s_waitcnt vmcnt(2)
	v_mul_f16_sdwa v40, v24, v37 dst_sel:DWORD dst_unused:UNUSED_PAD src0_sel:DWORD src1_sel:WORD_1
	s_waitcnt vmcnt(1)
	v_mul_f16_sdwa v41, v3, v28 dst_sel:DWORD dst_unused:UNUSED_PAD src0_sel:DWORD src1_sel:WORD_1
	v_mul_f16_sdwa v42, v18, v28 dst_sel:DWORD dst_unused:UNUSED_PAD src0_sel:DWORD src1_sel:WORD_1
	;; [unrolled: 1-line block ×5, first 2 shown]
	v_fma_f16 v25, v25, v37, -v40
	v_fma_f16 v18, v18, v28, -v41
	v_mul_f16_sdwa v46, v19, v29 dst_sel:DWORD dst_unused:UNUSED_PAD src0_sel:DWORD src1_sel:WORD_1
	v_mul_f16_sdwa v47, v22, v36 dst_sel:DWORD dst_unused:UNUSED_PAD src0_sel:DWORD src1_sel:WORD_1
	s_waitcnt vmcnt(0)
	v_mul_f16_sdwa v48, v8, v35 dst_sel:DWORD dst_unused:UNUSED_PAD src0_sel:DWORD src1_sel:WORD_1
	v_mul_f16_sdwa v49, v5, v30 dst_sel:DWORD dst_unused:UNUSED_PAD src0_sel:DWORD src1_sel:WORD_1
	;; [unrolled: 1-line block ×4, first 2 shown]
	v_fma_f16 v24, v24, v37, v43
	v_fma_f16 v22, v22, v36, -v44
	v_fma_f16 v19, v19, v29, -v45
	v_fma_f16 v3, v3, v28, v42
	v_add_f16_e32 v28, v18, v25
	v_mul_f16_sdwa v52, v7, v34 dst_sel:DWORD dst_unused:UNUSED_PAD src0_sel:DWORD src1_sel:WORD_1
	v_mul_f16_sdwa v53, v10, v31 dst_sel:DWORD dst_unused:UNUSED_PAD src0_sel:DWORD src1_sel:WORD_1
	;; [unrolled: 1-line block ×6, first 2 shown]
	v_fma_f16 v9, v9, v36, v47
	v_fma_f16 v4, v4, v29, v46
	;; [unrolled: 1-line block ×3, first 2 shown]
	v_fma_f16 v17, v17, v35, -v48
	v_fma_f16 v20, v20, v30, -v49
	v_fma_f16 v8, v8, v35, v51
	v_sub_f16_e32 v29, v3, v24
	v_add_f16_e32 v30, v19, v22
	v_sub_f16_e32 v35, v18, v25
	v_mul_f16_e32 v46, 0xbbad, v28
	v_mul_f16_sdwa v56, v6, v33 dst_sel:DWORD dst_unused:UNUSED_PAD src0_sel:DWORD src1_sel:WORD_1
	v_mul_f16_sdwa v59, v23, v33 dst_sel:DWORD dst_unused:UNUSED_PAD src0_sel:DWORD src1_sel:WORD_1
	v_fma_f16 v27, v27, v34, -v52
	v_fma_f16 v21, v21, v31, -v53
	v_fma_f16 v10, v10, v31, v54
	v_fma_f16 v7, v7, v34, v55
	v_fma_f16 v26, v26, v32, -v57
	v_fma_f16 v11, v11, v32, v58
	v_sub_f16_e32 v31, v4, v9
	v_add_f16_e32 v32, v20, v17
	v_add_f16_e32 v34, v3, v24
	v_sub_f16_e32 v37, v19, v22
	v_mul_f16_e32 v47, 0x3abb, v30
	v_mul_f16_e32 v49, 0xb482, v35
	v_fma_f16 v54, v29, s7, v46
	v_fma_f16 v23, v23, v33, -v56
	v_fma_f16 v6, v6, v33, v59
	v_sub_f16_e32 v33, v5, v8
	v_add_f16_e32 v36, v4, v9
	v_add_f16_e32 v40, v21, v27
	v_sub_f16_e32 v45, v20, v17
	v_mul_f16_e32 v48, 0xb93d, v32
	v_mul_f16_e32 v50, 0x3853, v37
	v_fma_f16 v55, v31, s6, v47
	v_fma_f16 v56, v34, s0, v49
	v_add_f16_e32 v54, v16, v54
	v_sub_f16_e32 v41, v10, v7
	v_add_f16_e32 v42, v26, v23
	v_add_f16_e32 v44, v5, v8
	v_mul_f16_e32 v51, 0x36a6, v40
	v_mul_f16_e32 v53, 0xba0c, v45
	v_fma_f16 v57, v36, s1, v50
	v_fma_f16 v58, v33, s15, v48
	v_add_f16_e32 v56, v2, v56
	v_add_f16_e32 v54, v55, v54
	v_sub_f16_e32 v43, v11, v6
	v_mul_f16_e32 v52, 0xb08e, v42
	v_fma_f16 v59, v41, s10, v51
	v_add_f16_e32 v55, v57, v56
	v_add_f16_e32 v54, v58, v54
	v_fma_f16 v56, v44, s11, v53
	v_sub_f16_e32 v57, v21, v27
	v_fma_f16 v60, v43, s14, v52
	v_add_f16_e32 v54, v59, v54
	v_add_f16_e32 v55, v56, v55
	;; [unrolled: 1-line block ×3, first 2 shown]
	v_mul_f16_e32 v58, 0x3b47, v57
	v_add_f16_e32 v54, v60, v54
	v_fma_f16 v59, v56, s16, v58
	v_sub_f16_e32 v60, v26, v23
	v_add_f16_e32 v55, v59, v55
	v_add_f16_e32 v59, v11, v6
	v_mul_f16_e32 v61, 0xbbeb, v60
	v_fma_f16 v62, v59, s17, v61
	v_add_f16_e32 v55, v62, v55
	v_mul_f16_e32 v62, 0xb93d, v28
	v_fma_f16 v63, v29, s15, v62
	v_mul_f16_e32 v64, 0xb08e, v30
	v_add_f16_e32 v63, v16, v63
	v_fma_f16 v65, v31, s18, v64
	v_add_f16_e32 v63, v65, v63
	v_mul_f16_e32 v65, 0x3abb, v32
	v_fma_f16 v66, v33, s19, v65
	v_add_f16_e32 v63, v66, v63
	v_mul_f16_e32 v66, 0xbbad, v40
	v_fma_f16 v67, v41, s7, v66
	v_add_f16_e32 v63, v67, v63
	v_mul_f16_e32 v67, 0x36a6, v42
	v_fma_f16 v68, v43, s10, v67
	v_add_f16_e32 v63, v68, v63
	v_mul_f16_e32 v68, 0xba0c, v35
	v_fma_f16 v69, v34, s11, v68
	v_mul_f16_e32 v70, 0x3beb, v37
	v_add_f16_e32 v69, v2, v69
	v_fma_f16 v71, v36, s17, v70
	v_add_f16_e32 v69, v71, v69
	v_mul_f16_e32 v71, 0xb853, v45
	v_fma_f16 v72, v44, s1, v71
	v_add_f16_e32 v69, v72, v69
	v_mul_f16_e32 v72, 0xb482, v57
	v_fma_f16 v73, v56, s0, v72
	;; [unrolled: 15-line block ×6, first 2 shown]
	v_add_f16_e32 v93, v97, v93
	v_mul_f16_e32 v97, 0x3853, v60
	v_add_f16_e32 v3, v2, v3
	v_fma_f16 v98, v59, s1, v97
	v_mul_f16_e32 v28, 0x3abb, v28
	v_add_f16_e32 v3, v3, v4
	v_add_f16_e32 v93, v98, v93
	v_fma_f16 v98, v29, s19, v28
	v_mul_f16_e32 v30, 0x36a6, v30
	v_add_f16_e32 v3, v3, v5
	;; [unrolled: 4-line block ×4, first 2 shown]
	v_fma_f16 v5, v29, s20, v46
	v_add_f16_e32 v98, v99, v98
	v_fma_f16 v99, v41, s15, v40
	v_add_f16_e32 v3, v3, v6
	v_add_f16_e32 v5, v16, v5
	v_fma_f16 v6, v31, s19, v47
	s_mov_b32 s15, 0xba0c
	v_add_f16_e32 v5, v6, v5
	v_fma_f16 v6, v33, s15, v48
	v_add_f16_e32 v5, v6, v5
	v_fma_f16 v6, v41, s21, v51
	;; [unrolled: 2-line block ×3, first 2 shown]
	v_add_f16_e32 v5, v6, v5
	v_fma_f16 v6, v34, s0, -v49
	v_add_f16_e32 v3, v3, v7
	v_add_f16_e32 v6, v2, v6
	v_fma_f16 v7, v36, s1, -v50
	v_add_f16_e32 v6, v7, v6
	v_fma_f16 v7, v44, s11, -v53
	;; [unrolled: 2-line block ×4, first 2 shown]
	v_add_f16_e32 v6, v7, v6
	v_fma_f16 v7, v29, s15, v62
	v_add_f16_e32 v3, v3, v8
	v_add_f16_e32 v7, v16, v7
	v_fma_f16 v8, v31, s14, v64
	v_add_f16_e32 v7, v8, v7
	v_fma_f16 v8, v33, s6, v65
	v_add_f16_e32 v7, v8, v7
	v_fma_f16 v8, v41, s20, v66
	v_add_f16_e32 v7, v8, v7
	v_fma_f16 v8, v43, s21, v67
	v_add_f16_e32 v7, v8, v7
	v_fma_f16 v8, v34, s11, -v68
	v_add_f16_e32 v3, v3, v9
	v_add_f16_e32 v8, v2, v8
	v_fma_f16 v9, v36, s17, -v70
	v_add_f16_e32 v8, v9, v8
	v_fma_f16 v9, v44, s1, -v71
	;; [unrolled: 2-line block ×4, first 2 shown]
	v_add_f16_e32 v8, v9, v8
	v_fma_f16 v9, v29, s18, v74
	v_add_f16_e32 v9, v16, v9
	v_fma_f16 v10, v31, s7, v76
	;; [unrolled: 2-line block ×4, first 2 shown]
	v_add_f16_e32 v4, v16, v18
	v_add_f16_e32 v9, v10, v9
	v_fma_f16 v10, v43, s15, v79
	v_add_f16_e32 v4, v4, v19
	v_add_f16_e32 v9, v10, v9
	v_fma_f16 v10, v34, s17, -v80
	v_add_f16_e32 v4, v4, v20
	v_add_f16_e32 v10, v2, v10
	v_fma_f16 v11, v36, s0, -v82
	;; [unrolled: 3-line block ×5, first 2 shown]
	v_add_f16_e32 v4, v4, v27
	v_add_f16_e32 v10, v11, v10
	v_fma_f16 v11, v29, s10, v86
	v_add_f16_e32 v4, v4, v17
	v_add_f16_e32 v11, v16, v11
	v_fma_f16 v17, v31, s15, v88
	v_add_f16_e32 v11, v17, v11
	v_fma_f16 v17, v33, s7, v89
	;; [unrolled: 2-line block ×4, first 2 shown]
	v_add_f16_e32 v11, v17, v11
	v_fma_f16 v17, v34, s16, -v92
	v_add_f16_e32 v17, v2, v17
	v_fma_f16 v18, v36, s11, -v94
	;; [unrolled: 2-line block ×5, first 2 shown]
	v_add_f16_e32 v17, v18, v17
	v_fma_f16 v18, v29, s6, v28
	v_add_f16_e32 v16, v16, v18
	v_fma_f16 v18, v31, s10, v30
	;; [unrolled: 2-line block ×3, first 2 shown]
	v_mul_f16_e32 v42, 0xbbad, v42
	v_add_f16_e32 v16, v18, v16
	v_fma_f16 v18, v41, s15, v40
	v_add_f16_e32 v98, v99, v98
	v_fma_f16 v99, v43, s7, v42
	v_mul_f16_e32 v35, 0xb853, v35
	v_add_f16_e32 v16, v18, v16
	v_fma_f16 v18, v43, s20, v42
	v_add_f16_e32 v98, v99, v98
	v_fma_f16 v99, v34, s1, v35
	v_mul_f16_e32 v37, 0xbb47, v37
	v_add_f16_e32 v16, v18, v16
	v_fma_f16 v18, v34, s1, -v35
	v_add_f16_e32 v99, v2, v99
	v_fma_f16 v100, v36, s16, v37
	v_mul_f16_e32 v45, 0xbbeb, v45
	v_add_f16_e32 v2, v2, v18
	v_fma_f16 v18, v36, s16, -v37
	;; [unrolled: 5-line block ×4, first 2 shown]
	v_add_f16_e32 v99, v100, v99
	v_fma_f16 v100, v59, s0, v60
	v_add_f16_e32 v4, v4, v22
	v_add_f16_e32 v2, v18, v2
	v_fma_f16 v18, v59, s0, -v60
	v_mov_b32_e32 v19, 2
	v_add_f16_e32 v99, v100, v99
	v_add_f16_e32 v3, v3, v24
	;; [unrolled: 1-line block ×4, first 2 shown]
	v_mul_u32_u24_e32 v18, 0x294, v38
	v_lshlrev_b32_sdwa v19, v19, v39 dst_sel:DWORD dst_unused:UNUSED_PAD src0_sel:DWORD src1_sel:BYTE_0
	v_add3_u32 v18, 0, v18, v19
	v_pack_b32_f16 v3, v3, v4
	v_pack_b32_f16 v4, v99, v98
	ds_write2_b32 v18, v3, v4 offset1:15
	v_pack_b32_f16 v3, v93, v87
	v_pack_b32_f16 v4, v81, v75
	ds_write2_b32 v18, v3, v4 offset0:30 offset1:45
	v_pack_b32_f16 v3, v69, v63
	v_pack_b32_f16 v4, v55, v54
	ds_write2_b32 v18, v3, v4 offset0:60 offset1:75
	;; [unrolled: 3-line block ×3, first 2 shown]
	v_pack_b32_f16 v3, v10, v9
	v_pack_b32_f16 v4, v17, v11
	;; [unrolled: 1-line block ×3, first 2 shown]
	ds_write2_b32 v18, v3, v4 offset0:120 offset1:135
	ds_write_b32 v18, v2 offset:600
.LBB0_21:
	s_or_b64 exec, exec, s[4:5]
	v_lshlrev_b32_e32 v4, 1, v12
	v_mov_b32_e32 v5, 0
	v_lshlrev_b64 v[2:3], 2, v[4:5]
	v_mov_b32_e32 v4, s9
	v_add_co_u32_e64 v2, s[0:1], s8, v2
	v_addc_co_u32_e64 v3, s[0:1], v4, v3, s[0:1]
	s_mov_b32 s0, 0x8d31
	v_mul_u32_u24_sdwa v4, v14, s0 dst_sel:DWORD dst_unused:UNUSED_PAD src0_sel:WORD_0 src1_sel:DWORD
	v_sub_u16_sdwa v6, v14, v4 dst_sel:DWORD dst_unused:UNUSED_PAD src0_sel:DWORD src1_sel:WORD_1
	v_lshrrev_b16_e32 v6, 1, v6
	v_add_u16_sdwa v4, v6, v4 dst_sel:DWORD dst_unused:UNUSED_PAD src0_sel:DWORD src1_sel:WORD_1
	v_lshrrev_b16_e32 v4, 7, v4
	s_waitcnt lgkmcnt(0)
	s_barrier
	global_load_dwordx2 v[16:17], v[2:3], off offset:648
	v_mul_lo_u16_e32 v4, 0xa5, v4
	v_sub_u16_e32 v4, v14, v4
	v_lshlrev_b32_e32 v6, 3, v4
	global_load_dwordx2 v[18:19], v6, s[8:9] offset:648
	v_add_u32_e32 v6, 0x700, v15
	ds_read_b32 v11, v15
	v_add_u32_e32 v8, 0xc00, v15
	v_lshl_add_u32 v7, v13, 2, 0
	v_add_u32_e32 v9, 0x1200, v15
	v_lshl_add_u32 v10, v14, 2, 0
	ds_read2_b32 v[20:21], v6 offset0:47 offset1:212
	ds_read_b32 v26, v7
	ds_read_b32 v27, v10
	ds_read2_b32 v[22:23], v9 offset0:3 offset1:168
	ds_read2_b32 v[24:25], v8 offset0:57 offset1:222
	s_waitcnt lgkmcnt(4)
	v_lshrrev_b32_e32 v32, 16, v20
	v_lshrrev_b32_e32 v34, 16, v21
	;; [unrolled: 1-line block ×3, first 2 shown]
	s_waitcnt lgkmcnt(1)
	v_lshrrev_b32_e32 v35, 16, v22
	s_waitcnt lgkmcnt(0)
	v_lshrrev_b32_e32 v33, 16, v25
	v_lshrrev_b32_e32 v31, 16, v23
	;; [unrolled: 1-line block ×3, first 2 shown]
	s_mov_b32 s0, 0xbaee
	s_movk_i32 s1, 0x3aee
	v_lshrrev_b32_e32 v29, 16, v26
	v_lshrrev_b32_e32 v30, 16, v27
	s_waitcnt vmcnt(0)
	s_barrier
	v_lshl_add_u32 v4, v4, 2, 0
	v_mul_f16_sdwa v37, v16, v32 dst_sel:DWORD dst_unused:UNUSED_PAD src0_sel:WORD_1 src1_sel:DWORD
	v_mul_f16_sdwa v38, v16, v20 dst_sel:DWORD dst_unused:UNUSED_PAD src0_sel:WORD_1 src1_sel:DWORD
	;; [unrolled: 1-line block ×8, first 2 shown]
	v_fma_f16 v20, v16, v20, v37
	v_fma_f16 v32, v16, v32, -v38
	v_fma_f16 v25, v17, v25, v39
	v_fma_f16 v33, v17, v33, -v40
	v_fma_f16 v21, v16, v21, v41
	v_fma_f16 v22, v17, v22, v43
	v_fma_f16 v16, v16, v34, -v42
	v_fma_f16 v17, v17, v35, -v44
	v_add_f16_e32 v35, v20, v25
	v_sub_f16_e32 v37, v32, v33
	v_add_f16_e32 v38, v28, v32
	v_add_f16_e32 v32, v32, v33
	;; [unrolled: 1-line block ×4, first 2 shown]
	v_sub_f16_e32 v20, v20, v25
	v_add_f16_e32 v39, v26, v21
	v_sub_f16_e32 v41, v16, v17
	v_fma_f16 v11, v35, -0.5, v11
	v_add_f16_e32 v33, v38, v33
	v_fma_f16 v28, v32, -0.5, v28
	v_fma_f16 v26, v40, -0.5, v26
	v_mul_f16_sdwa v38, v18, v36 dst_sel:DWORD dst_unused:UNUSED_PAD src0_sel:WORD_1 src1_sel:DWORD
	v_mul_f16_sdwa v40, v31, v19 dst_sel:DWORD dst_unused:UNUSED_PAD src0_sel:DWORD src1_sel:WORD_1
	v_add_f16_e32 v42, v29, v16
	v_add_f16_e32 v32, v39, v22
	v_fma_f16 v35, v37, s0, v11
	v_fma_f16 v11, v37, s1, v11
	;; [unrolled: 1-line block ×6, first 2 shown]
	v_mul_f16_sdwa v39, v18, v24 dst_sel:DWORD dst_unused:UNUSED_PAD src0_sel:WORD_1 src1_sel:DWORD
	v_mul_f16_sdwa v41, v23, v19 dst_sel:DWORD dst_unused:UNUSED_PAD src0_sel:DWORD src1_sel:WORD_1
	v_fma_f16 v24, v18, v24, v38
	v_fma_f16 v23, v23, v19, v40
	v_add_f16_e32 v16, v16, v17
	v_add_f16_e32 v25, v34, v25
	v_add_f16_e32 v34, v42, v17
	v_fma_f16 v18, v18, v36, -v39
	v_fma_f16 v19, v31, v19, -v41
	v_fma_f16 v16, v16, -0.5, v29
	v_sub_f16_e32 v17, v21, v22
	v_add_f16_e32 v22, v24, v23
	v_fma_f16 v21, v17, s1, v16
	v_fma_f16 v16, v17, s0, v16
	v_add_f16_e32 v17, v27, v24
	v_fma_f16 v22, v22, -0.5, v27
	v_sub_f16_e32 v27, v18, v19
	v_fma_f16 v29, v27, s0, v22
	v_fma_f16 v22, v27, s1, v22
	v_add_f16_e32 v27, v30, v18
	v_add_f16_e32 v18, v18, v19
	;; [unrolled: 1-line block ×3, first 2 shown]
	v_fma_f16 v18, v18, -0.5, v30
	v_sub_f16_e32 v19, v24, v23
	v_add_f16_e32 v17, v17, v23
	v_fma_f16 v23, v19, s1, v18
	v_fma_f16 v18, v19, s0, v18
	v_pack_b32_f16 v19, v25, v33
	v_pack_b32_f16 v24, v35, v37
	ds_write2_b32 v15, v19, v24 offset1:165
	v_pack_b32_f16 v11, v11, v20
	v_pack_b32_f16 v19, v32, v34
	v_add_u32_e32 v20, 0x400, v15
	ds_write2_b32 v20, v11, v19 offset0:74 offset1:239
	v_pack_b32_f16 v11, v28, v21
	v_pack_b32_f16 v16, v26, v16
	v_add_u32_e32 v19, 0xa00, v15
	ds_write2_b32 v19, v11, v16 offset0:20 offset1:185
	;; [unrolled: 4-line block ×3, first 2 shown]
	v_pack_b32_f16 v11, v22, v18
	ds_write_b32 v4, v11 offset:5280
	s_waitcnt lgkmcnt(0)
	s_barrier
	s_and_saveexec_b64 s[4:5], vcc
	s_cbranch_execz .LBB0_23
; %bb.22:
	v_lshlrev_b32_e32 v4, 1, v14
	v_lshlrev_b64 v[16:17], 2, v[4:5]
	v_lshlrev_b32_e32 v4, 1, v13
	v_mov_b32_e32 v11, s9
	v_add_co_u32_e32 v16, vcc, s8, v16
	v_lshlrev_b64 v[4:5], 2, v[4:5]
	v_addc_co_u32_e32 v17, vcc, v11, v17, vcc
	global_load_dwordx2 v[16:17], v[16:17], off offset:1968
	v_add_co_u32_e32 v4, vcc, s8, v4
	v_addc_co_u32_e32 v5, vcc, v11, v5, vcc
	global_load_dwordx2 v[13:14], v[4:5], off offset:1968
	global_load_dwordx2 v[18:19], v[2:3], off offset:1968
	ds_read2_b32 v[2:3], v8 offset0:57 offset1:222
	ds_read_b32 v8, v10
	ds_read2_b32 v[4:5], v9 offset0:3 offset1:168
	ds_read_b32 v9, v7
	;; [unrolled: 2-line block ×3, first 2 shown]
	s_waitcnt lgkmcnt(5)
	v_lshrrev_b32_e32 v15, 16, v2
	s_waitcnt lgkmcnt(3)
	v_lshrrev_b32_e32 v20, 16, v5
	v_lshrrev_b32_e32 v11, 16, v8
	s_waitcnt lgkmcnt(1)
	v_lshrrev_b32_e32 v22, 16, v7
	v_lshrrev_b32_e32 v23, 16, v4
	;; [unrolled: 1-line block ×5, first 2 shown]
	s_waitcnt lgkmcnt(0)
	v_lshrrev_b32_e32 v24, 16, v10
	s_waitcnt vmcnt(2)
	v_lshrrev_b32_e32 v27, 16, v17
	v_mul_f16_sdwa v28, v16, v2 dst_sel:DWORD dst_unused:UNUSED_PAD src0_sel:WORD_1 src1_sel:DWORD
	v_mul_f16_sdwa v29, v16, v15 dst_sel:DWORD dst_unused:UNUSED_PAD src0_sel:WORD_1 src1_sel:DWORD
	v_mul_f16_e32 v30, v17, v5
	v_fma_f16 v15, v16, v15, -v28
	v_mul_f16_e32 v5, v27, v5
	v_fma_f16 v2, v16, v2, v29
	v_fma_f16 v16, v20, v27, v30
	s_waitcnt vmcnt(1)
	v_mul_f16_sdwa v27, v13, v7 dst_sel:DWORD dst_unused:UNUSED_PAD src0_sel:WORD_1 src1_sel:DWORD
	v_mul_f16_sdwa v28, v14, v4 dst_sel:DWORD dst_unused:UNUSED_PAD src0_sel:WORD_1 src1_sel:DWORD
	;; [unrolled: 1-line block ×4, first 2 shown]
	s_waitcnt vmcnt(0)
	v_mul_f16_sdwa v31, v18, v6 dst_sel:DWORD dst_unused:UNUSED_PAD src0_sel:WORD_1 src1_sel:DWORD
	v_mul_f16_sdwa v32, v19, v3 dst_sel:DWORD dst_unused:UNUSED_PAD src0_sel:WORD_1 src1_sel:DWORD
	v_mul_f16_sdwa v33, v18, v25 dst_sel:DWORD dst_unused:UNUSED_PAD src0_sel:WORD_1 src1_sel:DWORD
	v_mul_f16_sdwa v34, v19, v26 dst_sel:DWORD dst_unused:UNUSED_PAD src0_sel:WORD_1 src1_sel:DWORD
	v_fma_f16 v5, v17, v20, -v5
	v_sub_f16_e32 v17, v2, v16
	v_add_f16_e32 v20, v11, v15
	v_add_f16_e32 v35, v2, v16
	;; [unrolled: 1-line block ×3, first 2 shown]
	v_fma_f16 v22, v13, v22, -v27
	v_fma_f16 v23, v14, v23, -v28
	v_fma_f16 v7, v13, v7, v29
	v_fma_f16 v4, v14, v4, v30
	v_fma_f16 v13, v18, v25, -v31
	v_fma_f16 v14, v19, v26, -v32
	v_fma_f16 v6, v18, v6, v33
	v_fma_f16 v18, v19, v3, v34
	v_add_f16_e32 v3, v15, v5
	v_add_f16_e32 v19, v20, v5
	v_sub_f16_e32 v5, v15, v5
	v_add_f16_e32 v15, v2, v16
	v_add_f16_e32 v2, v22, v23
	v_fma_f16 v8, v35, -0.5, v8
	v_sub_f16_e32 v16, v7, v4
	v_add_f16_e32 v20, v7, v4
	v_sub_f16_e32 v25, v22, v23
	v_add_f16_e32 v22, v21, v22
	v_fma_f16 v3, v3, -0.5, v11
	v_fma_f16 v2, v2, -0.5, v21
	v_add_f16_e32 v7, v9, v7
	v_fma_f16 v11, v5, s1, v8
	v_fma_f16 v8, v5, s0, v8
	v_fma_f16 v5, v20, -0.5, v9
	v_add_f16_e32 v9, v22, v23
	v_fma_f16 v21, v17, s0, v3
	v_fma_f16 v17, v17, s1, v3
	;; [unrolled: 1-line block ×4, first 2 shown]
	v_mad_u64_u32 v[2:3], s[4:5], s2, v12, 0
	v_add_f16_e32 v26, v13, v14
	v_add_f16_e32 v28, v6, v18
	v_sub_f16_e32 v27, v6, v18
	v_add_f16_e32 v7, v7, v4
	v_fma_f16 v4, v26, -0.5, v24
	v_fma_f16 v20, v28, -0.5, v10
	v_fma_f16 v23, v25, s1, v5
	v_fma_f16 v25, v25, s0, v5
	v_sub_f16_e32 v5, v13, v14
	v_fma_f16 v26, v27, s0, v4
	v_fma_f16 v28, v5, s1, v20
	;; [unrolled: 1-line block ×4, first 2 shown]
	v_add_f16_e32 v5, v24, v13
	v_mad_u64_u32 v[3:4], s[0:1], s3, v12, v[3:4]
	v_add_f16_e32 v13, v5, v14
	v_add_f16_e32 v4, v10, v6
	v_add_u32_e32 v14, 0x1ef, v12
	v_add_f16_e32 v6, v4, v18
	v_mad_u64_u32 v[4:5], s[0:1], s2, v14, 0
	v_mov_b32_e32 v10, s13
	v_add_co_u32_e32 v18, vcc, s12, v0
	v_addc_co_u32_e32 v10, vcc, v10, v1, vcc
	v_lshlrev_b64 v[0:1], 2, v[2:3]
	v_mov_b32_e32 v2, v5
	v_mad_u64_u32 v[2:3], s[0:1], s3, v14, v[2:3]
	v_add_co_u32_e32 v0, vcc, v18, v0
	v_addc_co_u32_e32 v1, vcc, v10, v1, vcc
	v_pack_b32_f16 v3, v6, v13
	v_mov_b32_e32 v5, v2
	global_store_dword v[0:1], v3, off
	v_lshlrev_b64 v[0:1], 2, v[4:5]
	v_add_u32_e32 v4, 0x3de, v12
	v_mad_u64_u32 v[2:3], s[0:1], s2, v4, 0
	v_add_co_u32_e32 v0, vcc, v18, v0
	v_addc_co_u32_e32 v1, vcc, v10, v1, vcc
	v_pack_b32_f16 v5, v20, v27
	global_store_dword v[0:1], v5, off
	v_mov_b32_e32 v0, v3
	v_mad_u64_u32 v[0:1], s[0:1], s3, v4, v[0:1]
	v_add_u32_e32 v4, 0xa5, v12
	s_mov_b32 s4, 0x21195767
	v_mul_hi_u32 v5, v4, s4
	v_mov_b32_e32 v3, v0
	s_movk_i32 s5, 0x3de
	v_lshlrev_b64 v[0:1], 2, v[2:3]
	v_lshrrev_b32_e32 v2, 6, v5
	v_mad_u32_u24 v6, v2, s5, v4
	v_mad_u64_u32 v[2:3], s[0:1], s2, v6, 0
	v_add_u32_e32 v14, 0x1ef, v6
	v_add_co_u32_e32 v0, vcc, v18, v0
	v_mad_u64_u32 v[3:4], s[0:1], s3, v6, v[3:4]
	v_mad_u64_u32 v[4:5], s[0:1], s2, v14, 0
	v_addc_co_u32_e32 v1, vcc, v10, v1, vcc
	v_pack_b32_f16 v13, v28, v26
	global_store_dword v[0:1], v13, off
	v_lshlrev_b64 v[0:1], 2, v[2:3]
	v_mov_b32_e32 v2, v5
	v_mad_u64_u32 v[2:3], s[0:1], s3, v14, v[2:3]
	v_add_co_u32_e32 v0, vcc, v18, v0
	v_addc_co_u32_e32 v1, vcc, v10, v1, vcc
	v_pack_b32_f16 v3, v7, v9
	v_mov_b32_e32 v5, v2
	global_store_dword v[0:1], v3, off
	v_lshlrev_b64 v[0:1], 2, v[4:5]
	v_add_u32_e32 v4, 0x3de, v6
	v_mad_u64_u32 v[2:3], s[0:1], s2, v4, 0
	v_add_u32_e32 v5, 0x14a, v12
	v_mul_hi_u32 v7, v5, s4
	v_mad_u64_u32 v[3:4], s[0:1], s3, v4, v[3:4]
	v_add_co_u32_e32 v0, vcc, v18, v0
	v_lshrrev_b32_e32 v4, 6, v7
	v_mad_u32_u24 v7, v4, s5, v5
	v_mad_u64_u32 v[4:5], s[0:1], s2, v7, 0
	v_addc_co_u32_e32 v1, vcc, v10, v1, vcc
	v_pack_b32_f16 v6, v25, v16
	global_store_dword v[0:1], v6, off
	v_lshlrev_b64 v[0:1], 2, v[2:3]
	v_mov_b32_e32 v2, v5
	v_mad_u64_u32 v[2:3], s[0:1], s3, v7, v[2:3]
	v_add_co_u32_e32 v0, vcc, v18, v0
	v_addc_co_u32_e32 v1, vcc, v10, v1, vcc
	v_pack_b32_f16 v3, v23, v22
	v_mov_b32_e32 v5, v2
	global_store_dword v[0:1], v3, off
	v_lshlrev_b64 v[0:1], 2, v[4:5]
	v_add_u32_e32 v4, 0x1ef, v7
	v_mad_u64_u32 v[2:3], s[0:1], s2, v4, 0
	v_add_u32_e32 v7, 0x3de, v7
	v_add_co_u32_e32 v0, vcc, v18, v0
	v_mad_u64_u32 v[3:4], s[0:1], s3, v4, v[3:4]
	v_mad_u64_u32 v[4:5], s[0:1], s2, v7, 0
	v_addc_co_u32_e32 v1, vcc, v10, v1, vcc
	v_pack_b32_f16 v6, v15, v19
	global_store_dword v[0:1], v6, off
	v_lshlrev_b64 v[0:1], 2, v[2:3]
	v_mov_b32_e32 v2, v5
	v_mad_u64_u32 v[2:3], s[0:1], s3, v7, v[2:3]
	v_add_co_u32_e32 v0, vcc, v18, v0
	v_addc_co_u32_e32 v1, vcc, v10, v1, vcc
	v_pack_b32_f16 v3, v8, v17
	v_mov_b32_e32 v5, v2
	global_store_dword v[0:1], v3, off
	v_lshlrev_b64 v[0:1], 2, v[4:5]
	v_pack_b32_f16 v2, v11, v21
	v_add_co_u32_e32 v0, vcc, v18, v0
	v_addc_co_u32_e32 v1, vcc, v10, v1, vcc
	global_store_dword v[0:1], v2, off
.LBB0_23:
	s_endpgm
	.section	.rodata,"a",@progbits
	.p2align	6, 0x0
	.amdhsa_kernel fft_rtc_back_len1485_factors_3_5_11_3_3_wgs_165_tpt_165_half_ip_CI_sbrr_dirReg
		.amdhsa_group_segment_fixed_size 0
		.amdhsa_private_segment_fixed_size 0
		.amdhsa_kernarg_size 88
		.amdhsa_user_sgpr_count 6
		.amdhsa_user_sgpr_private_segment_buffer 1
		.amdhsa_user_sgpr_dispatch_ptr 0
		.amdhsa_user_sgpr_queue_ptr 0
		.amdhsa_user_sgpr_kernarg_segment_ptr 1
		.amdhsa_user_sgpr_dispatch_id 0
		.amdhsa_user_sgpr_flat_scratch_init 0
		.amdhsa_user_sgpr_private_segment_size 0
		.amdhsa_uses_dynamic_stack 0
		.amdhsa_system_sgpr_private_segment_wavefront_offset 0
		.amdhsa_system_sgpr_workgroup_id_x 1
		.amdhsa_system_sgpr_workgroup_id_y 0
		.amdhsa_system_sgpr_workgroup_id_z 0
		.amdhsa_system_sgpr_workgroup_info 0
		.amdhsa_system_vgpr_workitem_id 0
		.amdhsa_next_free_vgpr 101
		.amdhsa_next_free_sgpr 24
		.amdhsa_reserve_vcc 1
		.amdhsa_reserve_flat_scratch 0
		.amdhsa_float_round_mode_32 0
		.amdhsa_float_round_mode_16_64 0
		.amdhsa_float_denorm_mode_32 3
		.amdhsa_float_denorm_mode_16_64 3
		.amdhsa_dx10_clamp 1
		.amdhsa_ieee_mode 1
		.amdhsa_fp16_overflow 0
		.amdhsa_exception_fp_ieee_invalid_op 0
		.amdhsa_exception_fp_denorm_src 0
		.amdhsa_exception_fp_ieee_div_zero 0
		.amdhsa_exception_fp_ieee_overflow 0
		.amdhsa_exception_fp_ieee_underflow 0
		.amdhsa_exception_fp_ieee_inexact 0
		.amdhsa_exception_int_div_zero 0
	.end_amdhsa_kernel
	.text
.Lfunc_end0:
	.size	fft_rtc_back_len1485_factors_3_5_11_3_3_wgs_165_tpt_165_half_ip_CI_sbrr_dirReg, .Lfunc_end0-fft_rtc_back_len1485_factors_3_5_11_3_3_wgs_165_tpt_165_half_ip_CI_sbrr_dirReg
                                        ; -- End function
	.section	.AMDGPU.csdata,"",@progbits
; Kernel info:
; codeLenInByte = 8228
; NumSgprs: 28
; NumVgprs: 101
; ScratchSize: 0
; MemoryBound: 0
; FloatMode: 240
; IeeeMode: 1
; LDSByteSize: 0 bytes/workgroup (compile time only)
; SGPRBlocks: 3
; VGPRBlocks: 25
; NumSGPRsForWavesPerEU: 28
; NumVGPRsForWavesPerEU: 101
; Occupancy: 2
; WaveLimiterHint : 1
; COMPUTE_PGM_RSRC2:SCRATCH_EN: 0
; COMPUTE_PGM_RSRC2:USER_SGPR: 6
; COMPUTE_PGM_RSRC2:TRAP_HANDLER: 0
; COMPUTE_PGM_RSRC2:TGID_X_EN: 1
; COMPUTE_PGM_RSRC2:TGID_Y_EN: 0
; COMPUTE_PGM_RSRC2:TGID_Z_EN: 0
; COMPUTE_PGM_RSRC2:TIDIG_COMP_CNT: 0
	.type	__hip_cuid_65de7432f1795df7,@object ; @__hip_cuid_65de7432f1795df7
	.section	.bss,"aw",@nobits
	.globl	__hip_cuid_65de7432f1795df7
__hip_cuid_65de7432f1795df7:
	.byte	0                               ; 0x0
	.size	__hip_cuid_65de7432f1795df7, 1

	.ident	"AMD clang version 19.0.0git (https://github.com/RadeonOpenCompute/llvm-project roc-6.4.0 25133 c7fe45cf4b819c5991fe208aaa96edf142730f1d)"
	.section	".note.GNU-stack","",@progbits
	.addrsig
	.addrsig_sym __hip_cuid_65de7432f1795df7
	.amdgpu_metadata
---
amdhsa.kernels:
  - .args:
      - .actual_access:  read_only
        .address_space:  global
        .offset:         0
        .size:           8
        .value_kind:     global_buffer
      - .offset:         8
        .size:           8
        .value_kind:     by_value
      - .actual_access:  read_only
        .address_space:  global
        .offset:         16
        .size:           8
        .value_kind:     global_buffer
      - .actual_access:  read_only
        .address_space:  global
        .offset:         24
        .size:           8
        .value_kind:     global_buffer
      - .offset:         32
        .size:           8
        .value_kind:     by_value
      - .actual_access:  read_only
        .address_space:  global
        .offset:         40
        .size:           8
        .value_kind:     global_buffer
      - .actual_access:  read_only
        .address_space:  global
        .offset:         48
        .size:           8
        .value_kind:     global_buffer
      - .offset:         56
        .size:           4
        .value_kind:     by_value
      - .actual_access:  read_only
        .address_space:  global
        .offset:         64
        .size:           8
        .value_kind:     global_buffer
      - .actual_access:  read_only
        .address_space:  global
        .offset:         72
        .size:           8
        .value_kind:     global_buffer
      - .address_space:  global
        .offset:         80
        .size:           8
        .value_kind:     global_buffer
    .group_segment_fixed_size: 0
    .kernarg_segment_align: 8
    .kernarg_segment_size: 88
    .language:       OpenCL C
    .language_version:
      - 2
      - 0
    .max_flat_workgroup_size: 165
    .name:           fft_rtc_back_len1485_factors_3_5_11_3_3_wgs_165_tpt_165_half_ip_CI_sbrr_dirReg
    .private_segment_fixed_size: 0
    .sgpr_count:     28
    .sgpr_spill_count: 0
    .symbol:         fft_rtc_back_len1485_factors_3_5_11_3_3_wgs_165_tpt_165_half_ip_CI_sbrr_dirReg.kd
    .uniform_work_group_size: 1
    .uses_dynamic_stack: false
    .vgpr_count:     101
    .vgpr_spill_count: 0
    .wavefront_size: 64
amdhsa.target:   amdgcn-amd-amdhsa--gfx906
amdhsa.version:
  - 1
  - 2
...

	.end_amdgpu_metadata
